;; amdgpu-corpus repo=linkedin/Liger-Kernel kind=triton arch=gfx950 opt=O3 lang=triton
	.amdgcn_target "amdgcn-amd-amdhsa--gfx950"
	.amdhsa_code_object_version 5
	.text
	.globl	_kldiv_kernel_forward           ; -- Begin function _kldiv_kernel_forward
	.p2align	8
	.type	_kldiv_kernel_forward,@function
_kldiv_kernel_forward:                  ; @_kldiv_kernel_forward
.Lfunc_begin0:
	.cfi_sections .debug_frame
	.cfi_startproc
; %bb.77:
	.file	1 "/root/src/amdgpu-assembly/repos/linkedin__Liger-Kernel/triton_aot_kernels" "kl_div_aot.py"
	.loc	1 12 0 prologue_end             ; kl_div_aot.py:12:0
	s_load_dwordx2 s[2:3], s[0:1], 0x0
	s_load_dwordx8 s[4:11], s[0:1], 0x8
	s_load_dwordx2 s[12:13], s[0:1], 0x28
	s_load_dword s14, s[0:1], 0x30
	s_waitcnt lgkmcnt(0)
	s_branch .LBB0_0
	.loc	1 0 0 is_stmt 0                 ; :0:0
.Ltmp0:
	.p2align	8
; %bb.78:
.LBB0_0:
.Ltmp1:
	.loc	1 52 27 is_stmt 1               ; kl_div_aot.py:52:27
	v_readfirstlane_b32 s33, v0
	.loc	1 33 30                         ; kl_div_aot.py:33:30
	s_cmp_lt_i32 s13, 1
	.loc	1 30 32                         ; kl_div_aot.py:30:32
	v_and_b32_e32 v26, 63, v0
	.loc	1 33 30                         ; kl_div_aot.py:33:30
	s_cbranch_scc1 .LBB0_73
; %bb.1:                                ; %.lr.ph
	.loc	1 26 19                         ; kl_div_aot.py:26:19
	s_mul_hi_i32 s1, s4, s15
	s_mul_i32 s0, s4, s15
	.loc	1 26 13 is_stmt 0               ; kl_div_aot.py:26:13
	s_lshl_b64 s[0:1], s[0:1], 2
	s_add_u32 s42, s2, s0
	s_addc_u32 s43, s3, s1
	.loc	1 27 20 is_stmt 1               ; kl_div_aot.py:27:20
	s_mul_hi_i32 s1, s8, s15
	s_mul_i32 s0, s8, s15
	.loc	1 27 14 is_stmt 0               ; kl_div_aot.py:27:14
	s_lshl_b64 s[0:1], s[0:1], 2
	s_add_u32 s44, s6, s0
	s_addc_u32 s45, s7, s1
	s_lshr_b32 s0, s33, 4
	s_and_b32 s0, s0, 12
	s_add_i32 s51, s0, 0
	v_cmp_gt_u32_e64 s[0:1], 4, v0
	v_lshl_add_u32 v28, v0, 2, 0
	v_and_b32_e32 v0, 3, v0
	.loc	1 30 32 is_stmt 1               ; kl_div_aot.py:30:32
	s_and_b32 s4, s33, 0xc0
	v_cmp_eq_u32_e64 s[2:3], 0, v0
	s_mov_b32 s50, 0
	v_cmp_eq_u32_e32 vcc, 0, v26
	s_and_b64 s[46:47], s[0:1], s[2:3]
	.loc	1 33 30                         ; kl_div_aot.py:33:30
	v_or_b32_e32 v29, s4, v26
	v_mov_b32_e32 v30, 0
	s_mov_b32 s52, 0x800000
	s_mov_b32 s53, 0x3f317217
	;; [unrolled: 1-line block ×3, first 2 shown]
	v_mov_b32_e32 v31, 0x41b17218
	v_mov_b32_e32 v27, 0
	s_branch .LBB0_3
.LBB0_2:                                ;   in Loop: Header=BB0_3 Depth=1
	.loc	1 0 30 is_stmt 0                ; kl_div_aot.py:0:30
	s_or_b64 exec, exec, s[2:3]
.Ltmp2:
	.file	2 "/root/.local/lib/python3.13/site-packages/triton/language" "standard.py"
	.loc	2 293 36 is_stmt 1              ; standard.py:293:36 @[ kl_div_aot.py:49:31 ]
	s_waitcnt lgkmcnt(0)
	s_barrier
	ds_read_b32 v0, v30
.Ltmp3:
	.loc	1 33 30                         ; kl_div_aot.py:33:30
	s_addk_i32 s50, 0x1000
	s_cmp_lt_i32 s50, s13
	.loc	1 49 24                         ; kl_div_aot.py:49:24
	s_waitcnt lgkmcnt(0)
	v_add_f32_e32 v27, v27, v0
	.loc	1 33 30                         ; kl_div_aot.py:33:30
	s_cbranch_scc0 .LBB0_74
.LBB0_3:                                ; =>This Inner Loop Header: Depth=1
	.loc	1 34 22                         ; kl_div_aot.py:34:22
	v_add_u32_e32 v0, s50, v29
	.loc	1 36 28                         ; kl_div_aot.py:36:28
	v_ashrrev_i32_e32 v1, 31, v0
	.loc	1 36 20 is_stmt 0               ; kl_div_aot.py:36:20
	v_mov_b32_e32 v32, 0
	.loc	1 35 25 is_stmt 1               ; kl_div_aot.py:35:25
	v_cmp_gt_i32_e64 s[2:3], s13, v0
	.loc	1 36 28                         ; kl_div_aot.py:36:28
	v_lshl_add_u64 v[2:3], v[0:1], 2, s[42:43]
	v_mov_b32_e32 v33, v32
	.loc	1 36 20 is_stmt 0               ; kl_div_aot.py:36:20
	s_and_saveexec_b64 s[4:5], s[2:3]
	s_cbranch_execz .LBB0_5
; %bb.4:                                ;   in Loop: Header=BB0_3 Depth=1
	global_load_dword v33, v[2:3], off
.LBB0_5:                                ;   in Loop: Header=BB0_3 Depth=1
	.loc	1 0 20                          ; kl_div_aot.py:0:20
	s_or_b64 exec, exec, s[4:5]
	.loc	1 34 22 is_stmt 1               ; kl_div_aot.py:34:22
	v_add_u32_e32 v4, 0x100, v0
	.loc	1 35 25                         ; kl_div_aot.py:35:25
	v_cmp_gt_i32_e64 s[4:5], s13, v4
	.loc	1 36 20                         ; kl_div_aot.py:36:20
	s_and_saveexec_b64 s[6:7], s[4:5]
	s_cbranch_execz .LBB0_7
; %bb.6:                                ;   in Loop: Header=BB0_3 Depth=1
	global_load_dword v32, v[2:3], off offset:1024
.LBB0_7:                                ;   in Loop: Header=BB0_3 Depth=1
	.loc	1 0 20 is_stmt 0                ; kl_div_aot.py:0:20
	s_or_b64 exec, exec, s[6:7]
	.loc	1 34 22 is_stmt 1               ; kl_div_aot.py:34:22
	v_add_u32_e32 v4, 0x200, v0
	.loc	1 36 20                         ; kl_div_aot.py:36:20
	v_mov_b32_e32 v34, 0
	.loc	1 35 25                         ; kl_div_aot.py:35:25
	v_cmp_gt_i32_e64 s[6:7], s13, v4
	v_mov_b32_e32 v35, v34
	.loc	1 36 20                         ; kl_div_aot.py:36:20
	s_and_saveexec_b64 s[8:9], s[6:7]
	s_cbranch_execz .LBB0_9
; %bb.8:                                ;   in Loop: Header=BB0_3 Depth=1
	global_load_dword v35, v[2:3], off offset:2048
.LBB0_9:                                ;   in Loop: Header=BB0_3 Depth=1
	.loc	1 0 20 is_stmt 0                ; kl_div_aot.py:0:20
	s_or_b64 exec, exec, s[8:9]
	.loc	1 34 22 is_stmt 1               ; kl_div_aot.py:34:22
	v_add_u32_e32 v4, 0x300, v0
	.loc	1 35 25                         ; kl_div_aot.py:35:25
	v_cmp_gt_i32_e64 s[8:9], s13, v4
	.loc	1 36 20                         ; kl_div_aot.py:36:20
	s_and_saveexec_b64 s[16:17], s[8:9]
	s_cbranch_execz .LBB0_11
; %bb.10:                               ;   in Loop: Header=BB0_3 Depth=1
	global_load_dword v34, v[2:3], off offset:3072
.LBB0_11:                               ;   in Loop: Header=BB0_3 Depth=1
	.loc	1 0 20 is_stmt 0                ; kl_div_aot.py:0:20
	s_or_b64 exec, exec, s[16:17]
	.loc	1 34 22 is_stmt 1               ; kl_div_aot.py:34:22
	v_add_u32_e32 v2, 0x400, v0
	.loc	1 36 20                         ; kl_div_aot.py:36:20
	v_mov_b32_e32 v36, 0
	.loc	1 35 25                         ; kl_div_aot.py:35:25
	v_cmp_gt_i32_e64 s[40:41], s13, v2
	.loc	1 36 28                         ; kl_div_aot.py:36:28
	v_ashrrev_i32_e32 v3, 31, v2
	v_mov_b32_e32 v37, v36
	.loc	1 36 20 is_stmt 0               ; kl_div_aot.py:36:20
	s_and_saveexec_b64 s[16:17], s[40:41]
	s_cbranch_execz .LBB0_13
; %bb.12:                               ;   in Loop: Header=BB0_3 Depth=1
	.loc	1 36 28                         ; kl_div_aot.py:36:28
	v_lshl_add_u64 v[4:5], v[2:3], 2, s[42:43]
	.loc	1 36 20                         ; kl_div_aot.py:36:20
	global_load_dword v37, v[4:5], off
.LBB0_13:                               ;   in Loop: Header=BB0_3 Depth=1
	.loc	1 0 20                          ; kl_div_aot.py:0:20
	s_or_b64 exec, exec, s[16:17]
	.loc	1 34 22 is_stmt 1               ; kl_div_aot.py:34:22
	v_add_u32_e32 v4, 0x500, v0
	.loc	1 35 25                         ; kl_div_aot.py:35:25
	v_cmp_gt_i32_e64 s[38:39], s13, v4
	.loc	1 36 28                         ; kl_div_aot.py:36:28
	v_ashrrev_i32_e32 v5, 31, v4
	.loc	1 36 20 is_stmt 0               ; kl_div_aot.py:36:20
	s_and_saveexec_b64 s[16:17], s[38:39]
	s_cbranch_execz .LBB0_15
; %bb.14:                               ;   in Loop: Header=BB0_3 Depth=1
	.loc	1 36 28                         ; kl_div_aot.py:36:28
	v_lshl_add_u64 v[6:7], v[4:5], 2, s[42:43]
	.loc	1 36 20                         ; kl_div_aot.py:36:20
	global_load_dword v36, v[6:7], off
.LBB0_15:                               ;   in Loop: Header=BB0_3 Depth=1
	.loc	1 0 20                          ; kl_div_aot.py:0:20
	s_or_b64 exec, exec, s[16:17]
	.loc	1 34 22 is_stmt 1               ; kl_div_aot.py:34:22
	v_add_u32_e32 v6, 0x600, v0
	.loc	1 36 20                         ; kl_div_aot.py:36:20
	v_mov_b32_e32 v38, 0
	.loc	1 35 25                         ; kl_div_aot.py:35:25
	v_cmp_gt_i32_e64 s[16:17], s13, v6
	.loc	1 36 28                         ; kl_div_aot.py:36:28
	v_ashrrev_i32_e32 v7, 31, v6
	v_mov_b32_e32 v39, v38
	.loc	1 36 20 is_stmt 0               ; kl_div_aot.py:36:20
	s_and_saveexec_b64 s[18:19], s[16:17]
	s_cbranch_execz .LBB0_17
; %bb.16:                               ;   in Loop: Header=BB0_3 Depth=1
	.loc	1 36 28                         ; kl_div_aot.py:36:28
	v_lshl_add_u64 v[8:9], v[6:7], 2, s[42:43]
	.loc	1 36 20                         ; kl_div_aot.py:36:20
	global_load_dword v39, v[8:9], off
.LBB0_17:                               ;   in Loop: Header=BB0_3 Depth=1
	.loc	1 0 20                          ; kl_div_aot.py:0:20
	s_or_b64 exec, exec, s[18:19]
	.loc	1 34 22 is_stmt 1               ; kl_div_aot.py:34:22
	v_add_u32_e32 v8, 0x700, v0
	.loc	1 35 25                         ; kl_div_aot.py:35:25
	v_cmp_gt_i32_e64 s[18:19], s13, v8
	.loc	1 36 28                         ; kl_div_aot.py:36:28
	v_ashrrev_i32_e32 v9, 31, v8
	.loc	1 36 20 is_stmt 0               ; kl_div_aot.py:36:20
	s_and_saveexec_b64 s[20:21], s[18:19]
	s_cbranch_execz .LBB0_19
; %bb.18:                               ;   in Loop: Header=BB0_3 Depth=1
	.loc	1 36 28                         ; kl_div_aot.py:36:28
	v_lshl_add_u64 v[10:11], v[8:9], 2, s[42:43]
	.loc	1 36 20                         ; kl_div_aot.py:36:20
	global_load_dword v38, v[10:11], off
.LBB0_19:                               ;   in Loop: Header=BB0_3 Depth=1
	.loc	1 0 20                          ; kl_div_aot.py:0:20
	;; [unrolled: 37-line block ×5, first 2 shown]
	s_or_b64 exec, exec, s[34:35]
	.loc	1 34 22 is_stmt 1               ; kl_div_aot.py:34:22
	v_add_u32_e32 v22, 0xe00, v0
	.loc	1 36 20                         ; kl_div_aot.py:36:20
	v_mov_b32_e32 v46, 0
	.loc	1 35 25                         ; kl_div_aot.py:35:25
	v_cmp_gt_i32_e64 s[34:35], s13, v22
	.loc	1 36 28                         ; kl_div_aot.py:36:28
	v_ashrrev_i32_e32 v23, 31, v22
	v_mov_b32_e32 v47, v46
	.loc	1 36 20 is_stmt 0               ; kl_div_aot.py:36:20
	s_and_saveexec_b64 s[36:37], s[34:35]
	s_cbranch_execz .LBB0_33
; %bb.32:                               ;   in Loop: Header=BB0_3 Depth=1
	.loc	1 36 28                         ; kl_div_aot.py:36:28
	v_lshl_add_u64 v[24:25], v[22:23], 2, s[42:43]
	.loc	1 36 20                         ; kl_div_aot.py:36:20
	global_load_dword v47, v[24:25], off
.LBB0_33:                               ;   in Loop: Header=BB0_3 Depth=1
	.loc	1 0 20                          ; kl_div_aot.py:0:20
	s_or_b64 exec, exec, s[36:37]
	.loc	1 35 25 is_stmt 1               ; kl_div_aot.py:35:25
	v_add_u32_e32 v24, 0xf00, v0
	v_cmp_gt_i32_e64 s[36:37], s13, v24
	.loc	1 36 28                         ; kl_div_aot.py:36:28
	v_ashrrev_i32_e32 v25, 31, v24
	.loc	1 36 20 is_stmt 0               ; kl_div_aot.py:36:20
	s_and_saveexec_b64 s[48:49], s[36:37]
	s_cbranch_execz .LBB0_35
; %bb.34:                               ;   in Loop: Header=BB0_3 Depth=1
	.loc	1 36 28                         ; kl_div_aot.py:36:28
	v_lshl_add_u64 v[48:49], v[24:25], 2, s[42:43]
	.loc	1 36 20                         ; kl_div_aot.py:36:20
	global_load_dword v46, v[48:49], off
.LBB0_35:                               ;   in Loop: Header=BB0_3 Depth=1
	.loc	1 0 20                          ; kl_div_aot.py:0:20
	s_or_b64 exec, exec, s[48:49]
	.loc	1 37 25 is_stmt 1               ; kl_div_aot.py:37:25
	v_mov_b32_e32 v49, 0
	.loc	1 37 34 is_stmt 0               ; kl_div_aot.py:37:34
	v_lshl_add_u64 v[0:1], v[0:1], 2, s[44:45]
	v_mov_b32_e32 v48, v49
	.loc	1 37 25                         ; kl_div_aot.py:37:25
	s_and_saveexec_b64 s[48:49], s[2:3]
	s_cbranch_execz .LBB0_37
; %bb.36:                               ;   in Loop: Header=BB0_3 Depth=1
	global_load_dword v48, v[0:1], off
.LBB0_37:                               ;   in Loop: Header=BB0_3 Depth=1
	.loc	1 0 25                          ; kl_div_aot.py:0:25
	s_or_b64 exec, exec, s[48:49]
	.loc	1 37 25                         ; kl_div_aot.py:37:25
	s_and_saveexec_b64 s[2:3], s[4:5]
	s_cbranch_execz .LBB0_39
; %bb.38:                               ;   in Loop: Header=BB0_3 Depth=1
	global_load_dword v49, v[0:1], off offset:1024
.LBB0_39:                               ;   in Loop: Header=BB0_3 Depth=1
	.loc	1 0 25                          ; kl_div_aot.py:0:25
	s_or_b64 exec, exec, s[2:3]
	.loc	1 37 25                         ; kl_div_aot.py:37:25
	v_mov_b32_e32 v50, 0
	v_mov_b32_e32 v51, v50
	s_and_saveexec_b64 s[2:3], s[6:7]
	s_cbranch_execz .LBB0_41
; %bb.40:                               ;   in Loop: Header=BB0_3 Depth=1
	global_load_dword v51, v[0:1], off offset:2048
.LBB0_41:                               ;   in Loop: Header=BB0_3 Depth=1
	.loc	1 0 25                          ; kl_div_aot.py:0:25
	s_or_b64 exec, exec, s[2:3]
	.loc	1 37 25                         ; kl_div_aot.py:37:25
	s_and_saveexec_b64 s[2:3], s[8:9]
	s_cbranch_execz .LBB0_43
; %bb.42:                               ;   in Loop: Header=BB0_3 Depth=1
	global_load_dword v50, v[0:1], off offset:3072
.LBB0_43:                               ;   in Loop: Header=BB0_3 Depth=1
	.loc	1 0 25                          ; kl_div_aot.py:0:25
	s_or_b64 exec, exec, s[2:3]
	.loc	1 37 25                         ; kl_div_aot.py:37:25
	v_mov_b32_e32 v0, 0
	v_mov_b32_e32 v1, v0
	s_and_saveexec_b64 s[2:3], s[40:41]
	s_cbranch_execz .LBB0_45
; %bb.44:                               ;   in Loop: Header=BB0_3 Depth=1
	.loc	1 37 34                         ; kl_div_aot.py:37:34
	v_lshl_add_u64 v[2:3], v[2:3], 2, s[44:45]
	.loc	1 37 25                         ; kl_div_aot.py:37:25
	global_load_dword v1, v[2:3], off
.LBB0_45:                               ;   in Loop: Header=BB0_3 Depth=1
	.loc	1 0 25                          ; kl_div_aot.py:0:25
	s_or_b64 exec, exec, s[2:3]
	.loc	1 37 25                         ; kl_div_aot.py:37:25
	s_and_saveexec_b64 s[2:3], s[38:39]
	s_cbranch_execz .LBB0_47
; %bb.46:                               ;   in Loop: Header=BB0_3 Depth=1
	.loc	1 37 34                         ; kl_div_aot.py:37:34
	v_lshl_add_u64 v[2:3], v[4:5], 2, s[44:45]
	.loc	1 37 25                         ; kl_div_aot.py:37:25
	global_load_dword v0, v[2:3], off
.LBB0_47:                               ;   in Loop: Header=BB0_3 Depth=1
	.loc	1 0 25                          ; kl_div_aot.py:0:25
	s_or_b64 exec, exec, s[2:3]
	.loc	1 37 25                         ; kl_div_aot.py:37:25
	v_mov_b32_e32 v2, 0
	v_mov_b32_e32 v3, v2
	s_and_saveexec_b64 s[2:3], s[16:17]
	s_cbranch_execz .LBB0_49
; %bb.48:                               ;   in Loop: Header=BB0_3 Depth=1
	.loc	1 37 34                         ; kl_div_aot.py:37:34
	v_lshl_add_u64 v[4:5], v[6:7], 2, s[44:45]
	.loc	1 37 25                         ; kl_div_aot.py:37:25
	global_load_dword v3, v[4:5], off
.LBB0_49:                               ;   in Loop: Header=BB0_3 Depth=1
	.loc	1 0 25                          ; kl_div_aot.py:0:25
	s_or_b64 exec, exec, s[2:3]
	.loc	1 37 25                         ; kl_div_aot.py:37:25
	s_and_saveexec_b64 s[2:3], s[18:19]
	s_cbranch_execz .LBB0_51
; %bb.50:                               ;   in Loop: Header=BB0_3 Depth=1
	.loc	1 37 34                         ; kl_div_aot.py:37:34
	v_lshl_add_u64 v[4:5], v[8:9], 2, s[44:45]
	.loc	1 37 25                         ; kl_div_aot.py:37:25
	global_load_dword v2, v[4:5], off
.LBB0_51:                               ;   in Loop: Header=BB0_3 Depth=1
	;; [unrolled: 24-line block ×6, first 2 shown]
	.loc	1 0 25                          ; kl_div_aot.py:0:25
	s_or_b64 exec, exec, s[2:3]
	.loc	1 42 55 is_stmt 1               ; kl_div_aot.py:42:55
	v_max_f32_e64 v12, s14, s14
	s_waitcnt vmcnt(0)
	v_max_f32_e32 v13, v48, v48
	v_max_f32_e32 v13, v13, v12
	.loc	1 42 36 is_stmt 0               ; kl_div_aot.py:42:36
	v_cmp_gt_f32_e64 s[2:3], s52, v13
	.loc	1 42 55                         ; kl_div_aot.py:42:55
	v_max_f32_e32 v14, v49, v49
	v_max_f32_e32 v14, v14, v12
	.loc	1 42 36                         ; kl_div_aot.py:42:36
	v_cndmask_b32_e64 v54, 0, 32, s[2:3]
	v_ldexp_f32 v13, v13, v54
	v_log_f32_e32 v13, v13
	v_cmp_gt_f32_e64 s[4:5], s52, v14
	.loc	1 42 55                         ; kl_div_aot.py:42:55
	v_max_f32_e32 v15, v51, v51
	v_max_f32_e32 v16, v50, v50
	;; [unrolled: 1-line block ×14, first 2 shown]
	.loc	1 42 36                         ; kl_div_aot.py:42:36
	v_cndmask_b32_e64 v55, 0, 32, s[4:5]
	.loc	1 42 55                         ; kl_div_aot.py:42:55
	v_max_f32_e32 v15, v15, v12
	v_max_f32_e32 v16, v16, v12
	;; [unrolled: 1-line block ×14, first 2 shown]
	.loc	1 42 36                         ; kl_div_aot.py:42:36
	v_mul_f32_e32 v54, 0x3f317217, v13
	v_ldexp_f32 v14, v14, v55
	v_fma_f32 v54, v13, s53, -v54
	v_log_f32_e32 v14, v14
	v_fmac_f32_e32 v54, 0x3377d1cf, v13
	v_fmac_f32_e32 v54, 0x3f317217, v13
	v_cmp_lt_f32_e64 s[6:7], |v13|, s54
.Ltmp4:
	.loc	2 293 36 is_stmt 1              ; standard.py:293:36 @[ kl_div_aot.py:49:31 ]
	s_waitcnt lgkmcnt(0)
	s_barrier
.Ltmp5:
	.loc	1 42 36                         ; kl_div_aot.py:42:36
	v_cndmask_b32_e64 v13, v13, v54, s[6:7]
	v_cndmask_b32_e64 v54, 0, v31, s[2:3]
	v_cmp_gt_f32_e64 s[2:3], s52, v15
	v_sub_f32_e32 v13, v13, v54
	v_mul_f32_e32 v54, 0x3f317217, v14
	v_cndmask_b32_e64 v55, 0, 32, s[2:3]
	v_fma_f32 v54, v14, s53, -v54
	v_ldexp_f32 v15, v15, v55
	v_fmac_f32_e32 v54, 0x3377d1cf, v14
	v_log_f32_e32 v15, v15
	v_fmac_f32_e32 v54, 0x3f317217, v14
	v_cmp_lt_f32_e64 s[6:7], |v14|, s54
	.loc	1 42 63 is_stmt 0               ; kl_div_aot.py:42:63
	v_sub_f32_e32 v13, v13, v33
	.loc	1 42 36                         ; kl_div_aot.py:42:36
	s_nop 0
	v_cndmask_b32_e64 v14, v14, v54, s[6:7]
	v_cndmask_b32_e64 v54, 0, v31, s[4:5]
	v_cmp_gt_f32_e64 s[4:5], s52, v16
	v_sub_f32_e32 v14, v14, v54
	v_mul_f32_e32 v54, 0x3f317217, v15
	v_cndmask_b32_e64 v55, 0, 32, s[4:5]
	v_ldexp_f32 v16, v16, v55
	v_fma_f32 v54, v15, s53, -v54
	v_log_f32_e32 v16, v16
	v_fmac_f32_e32 v54, 0x3377d1cf, v15
	v_fmac_f32_e32 v54, 0x3f317217, v15
	v_cmp_lt_f32_e64 s[6:7], |v15|, s54
	.loc	1 42 63                         ; kl_div_aot.py:42:63
	v_sub_f32_e32 v14, v14, v32
	.loc	1 42 29                         ; kl_div_aot.py:42:29
	v_mul_f32_e32 v14, v49, v14
	.loc	1 42 36                         ; kl_div_aot.py:42:36
	v_cndmask_b32_e64 v15, v15, v54, s[6:7]
	v_cndmask_b32_e64 v54, 0, v31, s[2:3]
	v_cmp_gt_f32_e64 s[2:3], s52, v17
	v_sub_f32_e32 v15, v15, v54
	v_mul_f32_e32 v54, 0x3f317217, v16
	v_cndmask_b32_e64 v55, 0, 32, s[2:3]
	v_fma_f32 v54, v16, s53, -v54
	v_ldexp_f32 v17, v17, v55
	v_fmac_f32_e32 v54, 0x3377d1cf, v16
	v_log_f32_e32 v17, v17
	v_fmac_f32_e32 v54, 0x3f317217, v16
	v_cmp_lt_f32_e64 s[6:7], |v16|, s54
	.loc	1 42 63                         ; kl_div_aot.py:42:63
	v_sub_f32_e32 v15, v15, v35
.Ltmp6:
	.loc	2 263 15 is_stmt 1              ; standard.py:263:15 @[ standard.py:293:36 @[ kl_div_aot.py:49:31 ] ]
	v_fmac_f32_e32 v14, v48, v13
.Ltmp7:
	.loc	1 42 36                         ; kl_div_aot.py:42:36
	v_cndmask_b32_e64 v16, v16, v54, s[6:7]
	v_cndmask_b32_e64 v54, 0, v31, s[4:5]
	v_cmp_gt_f32_e64 s[4:5], s52, v18
	v_sub_f32_e32 v16, v16, v54
	v_mul_f32_e32 v54, 0x3f317217, v17
	v_cndmask_b32_e64 v55, 0, 32, s[4:5]
	v_ldexp_f32 v18, v18, v55
	v_fma_f32 v54, v17, s53, -v54
	v_log_f32_e32 v18, v18
	v_fmac_f32_e32 v54, 0x3377d1cf, v17
	v_fmac_f32_e32 v54, 0x3f317217, v17
	v_cmp_lt_f32_e64 s[6:7], |v17|, s54
	.loc	1 42 63 is_stmt 0               ; kl_div_aot.py:42:63
	v_sub_f32_e32 v16, v16, v34
.Ltmp8:
	.loc	2 263 15 is_stmt 1              ; standard.py:263:15 @[ standard.py:293:36 @[ kl_div_aot.py:49:31 ] ]
	v_fmac_f32_e32 v14, v51, v15
.Ltmp9:
	.loc	1 42 36                         ; kl_div_aot.py:42:36
	v_cndmask_b32_e64 v17, v17, v54, s[6:7]
	v_cndmask_b32_e64 v54, 0, v31, s[2:3]
	v_cmp_gt_f32_e64 s[2:3], s52, v19
	v_sub_f32_e32 v17, v17, v54
	v_mul_f32_e32 v54, 0x3f317217, v18
	v_cndmask_b32_e64 v55, 0, 32, s[2:3]
	v_fma_f32 v54, v18, s53, -v54
	v_ldexp_f32 v19, v19, v55
	v_fmac_f32_e32 v54, 0x3377d1cf, v18
	v_log_f32_e32 v19, v19
	v_fmac_f32_e32 v54, 0x3f317217, v18
	v_cmp_lt_f32_e64 s[6:7], |v18|, s54
	.loc	1 42 63 is_stmt 0               ; kl_div_aot.py:42:63
	v_sub_f32_e32 v17, v17, v37
.Ltmp10:
	.loc	2 263 15 is_stmt 1              ; standard.py:263:15 @[ standard.py:293:36 @[ kl_div_aot.py:49:31 ] ]
	v_fmac_f32_e32 v14, v50, v16
.Ltmp11:
	.loc	1 42 36                         ; kl_div_aot.py:42:36
	v_cndmask_b32_e64 v18, v18, v54, s[6:7]
	v_cndmask_b32_e64 v54, 0, v31, s[4:5]
	v_cmp_gt_f32_e64 s[4:5], s52, v20
	v_sub_f32_e32 v18, v18, v54
	v_mul_f32_e32 v54, 0x3f317217, v19
	v_cndmask_b32_e64 v55, 0, 32, s[4:5]
	v_ldexp_f32 v20, v20, v55
	v_fma_f32 v54, v19, s53, -v54
	v_log_f32_e32 v20, v20
	v_fmac_f32_e32 v54, 0x3377d1cf, v19
	v_fmac_f32_e32 v54, 0x3f317217, v19
	v_cmp_lt_f32_e64 s[6:7], |v19|, s54
	.loc	1 42 63 is_stmt 0               ; kl_div_aot.py:42:63
	v_sub_f32_e32 v18, v18, v36
.Ltmp12:
	.loc	2 263 15 is_stmt 1              ; standard.py:263:15 @[ standard.py:293:36 @[ kl_div_aot.py:49:31 ] ]
	v_fmac_f32_e32 v14, v1, v17
.Ltmp13:
	.loc	1 42 36                         ; kl_div_aot.py:42:36
	v_cndmask_b32_e64 v19, v19, v54, s[6:7]
	v_cndmask_b32_e64 v54, 0, v31, s[2:3]
	v_cmp_gt_f32_e64 s[2:3], s52, v21
	v_sub_f32_e32 v19, v19, v54
	v_mul_f32_e32 v54, 0x3f317217, v20
	v_cndmask_b32_e64 v55, 0, 32, s[2:3]
	v_fma_f32 v54, v20, s53, -v54
	v_ldexp_f32 v21, v21, v55
	v_fmac_f32_e32 v54, 0x3377d1cf, v20
	v_log_f32_e32 v21, v21
	v_fmac_f32_e32 v54, 0x3f317217, v20
	v_cmp_lt_f32_e64 s[6:7], |v20|, s54
	.loc	1 42 63 is_stmt 0               ; kl_div_aot.py:42:63
	v_sub_f32_e32 v19, v19, v39
.Ltmp14:
	.loc	2 263 15 is_stmt 1              ; standard.py:263:15 @[ standard.py:293:36 @[ kl_div_aot.py:49:31 ] ]
	v_fmac_f32_e32 v14, v0, v18
.Ltmp15:
	.loc	1 42 36                         ; kl_div_aot.py:42:36
	v_cndmask_b32_e64 v20, v20, v54, s[6:7]
	v_cndmask_b32_e64 v54, 0, v31, s[4:5]
	v_cmp_gt_f32_e64 s[4:5], s52, v22
	v_sub_f32_e32 v20, v20, v54
	v_mul_f32_e32 v54, 0x3f317217, v21
	v_cndmask_b32_e64 v55, 0, 32, s[4:5]
	v_ldexp_f32 v22, v22, v55
	v_fma_f32 v54, v21, s53, -v54
	v_log_f32_e32 v22, v22
	v_fmac_f32_e32 v54, 0x3377d1cf, v21
	v_fmac_f32_e32 v54, 0x3f317217, v21
	v_cmp_lt_f32_e64 s[6:7], |v21|, s54
	.loc	1 42 63 is_stmt 0               ; kl_div_aot.py:42:63
	v_sub_f32_e32 v20, v20, v38
.Ltmp16:
	.loc	2 263 15 is_stmt 1              ; standard.py:263:15 @[ standard.py:293:36 @[ kl_div_aot.py:49:31 ] ]
	v_fmac_f32_e32 v14, v3, v19
.Ltmp17:
	.loc	1 42 36                         ; kl_div_aot.py:42:36
	v_cndmask_b32_e64 v21, v21, v54, s[6:7]
	v_cndmask_b32_e64 v54, 0, v31, s[2:3]
	v_cmp_gt_f32_e64 s[2:3], s52, v23
	v_sub_f32_e32 v21, v21, v54
	v_mul_f32_e32 v54, 0x3f317217, v22
	v_cndmask_b32_e64 v55, 0, 32, s[2:3]
	v_fma_f32 v54, v22, s53, -v54
	v_ldexp_f32 v23, v23, v55
	v_fmac_f32_e32 v54, 0x3377d1cf, v22
	v_log_f32_e32 v23, v23
	v_fmac_f32_e32 v54, 0x3f317217, v22
	v_cmp_lt_f32_e64 s[6:7], |v22|, s54
	.loc	1 42 63 is_stmt 0               ; kl_div_aot.py:42:63
	v_sub_f32_e32 v21, v21, v41
.Ltmp18:
	.loc	2 263 15 is_stmt 1              ; standard.py:263:15 @[ standard.py:293:36 @[ kl_div_aot.py:49:31 ] ]
	v_fmac_f32_e32 v14, v2, v20
.Ltmp19:
	.loc	1 42 36                         ; kl_div_aot.py:42:36
	v_cndmask_b32_e64 v22, v22, v54, s[6:7]
	v_cndmask_b32_e64 v54, 0, v31, s[4:5]
	v_cmp_gt_f32_e64 s[4:5], s52, v24
	v_sub_f32_e32 v22, v22, v54
	v_mul_f32_e32 v54, 0x3f317217, v23
	v_cndmask_b32_e64 v55, 0, 32, s[4:5]
	v_ldexp_f32 v24, v24, v55
	v_fma_f32 v54, v23, s53, -v54
	v_log_f32_e32 v24, v24
	v_fmac_f32_e32 v54, 0x3377d1cf, v23
	v_fmac_f32_e32 v54, 0x3f317217, v23
	v_cmp_lt_f32_e64 s[6:7], |v23|, s54
	.loc	1 42 63 is_stmt 0               ; kl_div_aot.py:42:63
	v_sub_f32_e32 v22, v22, v40
.Ltmp20:
	.loc	2 263 15 is_stmt 1              ; standard.py:263:15 @[ standard.py:293:36 @[ kl_div_aot.py:49:31 ] ]
	v_fmac_f32_e32 v14, v5, v21
.Ltmp21:
	.loc	1 42 36                         ; kl_div_aot.py:42:36
	v_cndmask_b32_e64 v23, v23, v54, s[6:7]
	v_cndmask_b32_e64 v54, 0, v31, s[2:3]
	v_cmp_gt_f32_e64 s[2:3], s52, v25
	v_sub_f32_e32 v23, v23, v54
	v_mul_f32_e32 v54, 0x3f317217, v24
	v_cndmask_b32_e64 v55, 0, 32, s[2:3]
	v_fma_f32 v54, v24, s53, -v54
	v_ldexp_f32 v25, v25, v55
	v_fmac_f32_e32 v54, 0x3377d1cf, v24
	v_log_f32_e32 v25, v25
	v_fmac_f32_e32 v54, 0x3f317217, v24
	v_cmp_lt_f32_e64 s[6:7], |v24|, s54
	.loc	1 42 63 is_stmt 0               ; kl_div_aot.py:42:63
	v_sub_f32_e32 v23, v23, v43
.Ltmp22:
	.loc	2 263 15 is_stmt 1              ; standard.py:263:15 @[ standard.py:293:36 @[ kl_div_aot.py:49:31 ] ]
	v_fmac_f32_e32 v14, v4, v22
.Ltmp23:
	.loc	1 42 36                         ; kl_div_aot.py:42:36
	v_cndmask_b32_e64 v24, v24, v54, s[6:7]
	v_cndmask_b32_e64 v54, 0, v31, s[4:5]
	v_cmp_gt_f32_e64 s[4:5], s52, v52
	v_sub_f32_e32 v24, v24, v54
	v_mul_f32_e32 v54, 0x3f317217, v25
	v_cndmask_b32_e64 v55, 0, 32, s[4:5]
	v_ldexp_f32 v52, v52, v55
	v_fma_f32 v54, v25, s53, -v54
	v_log_f32_e32 v52, v52
	v_fmac_f32_e32 v54, 0x3377d1cf, v25
	v_fmac_f32_e32 v54, 0x3f317217, v25
	v_cmp_lt_f32_e64 s[6:7], |v25|, s54
	.loc	1 42 63 is_stmt 0               ; kl_div_aot.py:42:63
	v_sub_f32_e32 v24, v24, v42
.Ltmp24:
	.loc	2 263 15 is_stmt 1              ; standard.py:263:15 @[ standard.py:293:36 @[ kl_div_aot.py:49:31 ] ]
	v_fmac_f32_e32 v14, v7, v23
.Ltmp25:
	.loc	1 42 36                         ; kl_div_aot.py:42:36
	v_cndmask_b32_e64 v25, v25, v54, s[6:7]
	v_cndmask_b32_e64 v54, 0, v31, s[2:3]
	v_cmp_gt_f32_e64 s[2:3], s52, v53
	v_sub_f32_e32 v25, v25, v54
	v_mul_f32_e32 v54, 0x3f317217, v52
	v_cndmask_b32_e64 v55, 0, 32, s[2:3]
	v_fma_f32 v54, v52, s53, -v54
	v_ldexp_f32 v53, v53, v55
	v_fmac_f32_e32 v54, 0x3377d1cf, v52
	v_log_f32_e32 v53, v53
	v_fmac_f32_e32 v54, 0x3f317217, v52
	v_cmp_lt_f32_e64 s[6:7], |v52|, s54
	.loc	1 42 63 is_stmt 0               ; kl_div_aot.py:42:63
	v_sub_f32_e32 v25, v25, v45
.Ltmp26:
	.loc	2 263 15 is_stmt 1              ; standard.py:263:15 @[ standard.py:293:36 @[ kl_div_aot.py:49:31 ] ]
	v_fmac_f32_e32 v14, v6, v24
.Ltmp27:
	.loc	1 42 36                         ; kl_div_aot.py:42:36
	v_cndmask_b32_e64 v52, v52, v54, s[6:7]
	v_cndmask_b32_e64 v54, 0, v31, s[4:5]
	v_cmp_gt_f32_e64 s[4:5], s52, v12
	v_sub_f32_e32 v52, v52, v54
	v_mul_f32_e32 v54, 0x3f317217, v53
	v_cndmask_b32_e64 v55, 0, 32, s[4:5]
	v_ldexp_f32 v12, v12, v55
	v_fma_f32 v54, v53, s53, -v54
	v_log_f32_e32 v12, v12
	v_fmac_f32_e32 v54, 0x3377d1cf, v53
	v_fmac_f32_e32 v54, 0x3f317217, v53
	v_cmp_lt_f32_e64 s[6:7], |v53|, s54
	.loc	1 42 63 is_stmt 0               ; kl_div_aot.py:42:63
	v_sub_f32_e32 v32, v52, v44
.Ltmp28:
	.loc	2 263 15 is_stmt 1              ; standard.py:263:15 @[ standard.py:293:36 @[ kl_div_aot.py:49:31 ] ]
	v_fmac_f32_e32 v14, v9, v25
.Ltmp29:
	.loc	1 42 36                         ; kl_div_aot.py:42:36
	v_cndmask_b32_e64 v53, v53, v54, s[6:7]
	v_cndmask_b32_e64 v54, 0, v31, s[2:3]
	v_sub_f32_e32 v53, v53, v54
	v_mul_f32_e32 v54, 0x3f317217, v12
	v_fma_f32 v54, v12, s53, -v54
	v_fmac_f32_e32 v54, 0x3377d1cf, v12
	v_fmac_f32_e32 v54, 0x3f317217, v12
	v_cmp_lt_f32_e64 s[2:3], |v12|, s54
	.loc	1 42 63 is_stmt 0               ; kl_div_aot.py:42:63
	v_sub_f32_e32 v33, v53, v47
.Ltmp30:
	.loc	2 263 15 is_stmt 1              ; standard.py:263:15 @[ standard.py:293:36 @[ kl_div_aot.py:49:31 ] ]
	v_fmac_f32_e32 v14, v8, v32
.Ltmp31:
	.loc	1 42 36                         ; kl_div_aot.py:42:36
	v_cndmask_b32_e64 v12, v12, v54, s[2:3]
	v_cndmask_b32_e64 v54, 0, v31, s[4:5]
	v_sub_f32_e32 v12, v12, v54
	.loc	1 42 63 is_stmt 0               ; kl_div_aot.py:42:63
	v_sub_f32_e32 v12, v12, v46
.Ltmp32:
	.loc	2 263 15 is_stmt 1              ; standard.py:263:15 @[ standard.py:293:36 @[ kl_div_aot.py:49:31 ] ]
	v_fmac_f32_e32 v14, v11, v33
	v_fmac_f32_e32 v14, v10, v12
	s_nop 1
	v_add_f32_dpp v0, v14, v14 row_shr:8 row_mask:0xf bank_mask:0xf bound_ctrl:1
	s_nop 1
	v_add_f32_dpp v0, v0, v0 row_shr:4 row_mask:0xf bank_mask:0xf bound_ctrl:1
	;; [unrolled: 2-line block ×4, first 2 shown]
.Ltmp33:
	.loc	2 293 36                        ; standard.py:293:36 @[ kl_div_aot.py:49:31 ]
	v_mov_b32_e32 v1, v0
	s_nop 1
	v_mov_b32_dpp v1, v1 row_bcast:15 row_mask:0xa bank_mask:0xf bound_ctrl:1
.Ltmp34:
	.loc	2 263 15                        ; standard.py:263:15 @[ standard.py:293:36 @[ kl_div_aot.py:49:31 ] ]
	v_add_f32_e32 v0, v1, v0
	s_nop 1
	v_add_f32_dpp v0, v0, v0 row_bcast:31 row_mask:0xf bank_mask:0xf bound_ctrl:1
.Ltmp35:
	.loc	2 293 36                        ; standard.py:293:36 @[ kl_div_aot.py:49:31 ]
	s_nop 0
	v_readlane_b32 s4, v0, 63
	s_and_saveexec_b64 s[2:3], vcc
; %bb.68:                               ;   in Loop: Header=BB0_3 Depth=1
	v_mov_b32_e32 v0, s51
	v_mov_b32_e32 v1, s4
	ds_write_b32 v0, v1
.Ltmp36:
; %bb.69:                               ;   in Loop: Header=BB0_3 Depth=1
	.loc	2 0 36 is_stmt 0                ; standard.py:0:36
	s_or_b64 exec, exec, s[2:3]
	.loc	1 49 31 is_stmt 1               ; kl_div_aot.py:49:31
	v_mov_b32_e32 v0, 0
.Ltmp37:
	.loc	2 293 36                        ; standard.py:293:36 @[ kl_div_aot.py:49:31 ]
	s_waitcnt lgkmcnt(0)
	s_barrier
	s_and_saveexec_b64 s[2:3], s[0:1]
; %bb.70:                               ;   in Loop: Header=BB0_3 Depth=1
	ds_read_b32 v0, v28
; %bb.71:                               ;   in Loop: Header=BB0_3 Depth=1
	.loc	2 0 36 is_stmt 0                ; standard.py:0:36
	s_or_b64 exec, exec, s[2:3]
	.loc	2 293 36                        ; standard.py:293:36 @[ kl_div_aot.py:49:31 ]
	s_waitcnt lgkmcnt(0)
	v_mov_b32_e32 v1, v0
	s_nop 1
	v_mov_b32_dpp v1, v1 quad_perm:[2,3,0,1] row_mask:0xf bank_mask:0xf
.Ltmp38:
	.loc	2 263 15 is_stmt 1              ; standard.py:263:15 @[ standard.py:293:36 @[ kl_div_aot.py:49:31 ] ]
	v_add_f32_e32 v0, v0, v1
.Ltmp39:
	.loc	2 293 36                        ; standard.py:293:36 @[ kl_div_aot.py:49:31 ]
	v_mov_b32_e32 v1, v0
	s_nop 1
	v_mov_b32_dpp v1, v1 quad_perm:[1,0,3,2] row_mask:0xf bank_mask:0xf
	s_and_saveexec_b64 s[2:3], s[46:47]
	s_cbranch_execz .LBB0_2
; %bb.72:                               ;   in Loop: Header=BB0_3 Depth=1
	.loc	2 0 36 is_stmt 0                ; standard.py:0:36
	v_add_f32_e32 v0, v0, v1
	.loc	2 293 36                        ; standard.py:293:36 @[ kl_div_aot.py:49:31 ]
	ds_write_b32 v28, v0
	s_branch .LBB0_2
.Ltmp40:
.LBB0_73:
	.loc	2 0 36                          ; standard.py:0:36
	v_mov_b32_e32 v27, 0
.LBB0_74:                               ; %._crit_edge
	.loc	1 52 27 is_stmt 1               ; kl_div_aot.py:52:27
	s_lshr_b32 s0, s33, 6
	v_or_b32_e32 v0, s0, v26
	v_cmp_eq_u32_e32 vcc, 0, v0
	s_and_saveexec_b64 s[0:1], vcc
	s_cbranch_execz .LBB0_76
; %bb.75:
	.loc	1 28 22                         ; kl_div_aot.py:28:22
	s_mul_hi_i32 s1, s12, s15
	s_mul_i32 s0, s12, s15
	.loc	1 28 16 is_stmt 0               ; kl_div_aot.py:28:16
	s_lshl_b64 s[0:1], s[0:1], 2
	s_add_u32 s0, s10, s0
	s_addc_u32 s1, s11, s1
	v_mov_b32_e32 v0, 0
	.loc	1 52 27 is_stmt 1               ; kl_div_aot.py:52:27
	global_store_dword v0, v27, s[0:1]
.LBB0_76:
	.loc	1 51 4                          ; kl_div_aot.py:51:4
	s_endpgm
.Ltmp41:
	.section	.rodata,"a",@progbits
	.p2align	6, 0x0
	.amdhsa_kernel _kldiv_kernel_forward
		.amdhsa_group_segment_fixed_size 0
		.amdhsa_private_segment_fixed_size 0
		.amdhsa_kernarg_size 72
		.amdhsa_user_sgpr_count 15
		.amdhsa_user_sgpr_dispatch_ptr 0
		.amdhsa_user_sgpr_queue_ptr 0
		.amdhsa_user_sgpr_kernarg_segment_ptr 1
		.amdhsa_user_sgpr_dispatch_id 0
		.amdhsa_user_sgpr_kernarg_preload_length 13
		.amdhsa_user_sgpr_kernarg_preload_offset 0
		.amdhsa_user_sgpr_private_segment_size 0
		.amdhsa_uses_dynamic_stack 0
		.amdhsa_enable_private_segment 0
		.amdhsa_system_sgpr_workgroup_id_x 1
		.amdhsa_system_sgpr_workgroup_id_y 0
		.amdhsa_system_sgpr_workgroup_id_z 0
		.amdhsa_system_sgpr_workgroup_info 0
		.amdhsa_system_vgpr_workitem_id 0
		.amdhsa_next_free_vgpr 56
		.amdhsa_next_free_sgpr 55
		.amdhsa_accum_offset 56
		.amdhsa_reserve_vcc 1
		.amdhsa_reserve_xnack_mask 1
		.amdhsa_float_round_mode_32 0
		.amdhsa_float_round_mode_16_64 0
		.amdhsa_float_denorm_mode_32 3
		.amdhsa_float_denorm_mode_16_64 3
		.amdhsa_dx10_clamp 1
		.amdhsa_ieee_mode 1
		.amdhsa_fp16_overflow 0
		.amdhsa_tg_split 0
		.amdhsa_exception_fp_ieee_invalid_op 0
		.amdhsa_exception_fp_denorm_src 0
		.amdhsa_exception_fp_ieee_div_zero 0
		.amdhsa_exception_fp_ieee_overflow 0
		.amdhsa_exception_fp_ieee_underflow 0
		.amdhsa_exception_fp_ieee_inexact 0
		.amdhsa_exception_int_div_zero 0
	.end_amdhsa_kernel
	.text
.Lfunc_end0:
	.size	_kldiv_kernel_forward, .Lfunc_end0-_kldiv_kernel_forward
	.cfi_endproc
                                        ; -- End function
	.set _kldiv_kernel_forward.num_vgpr, 56
	.set _kldiv_kernel_forward.num_agpr, 0
	.set _kldiv_kernel_forward.numbered_sgpr, 55
	.set _kldiv_kernel_forward.num_named_barrier, 0
	.set _kldiv_kernel_forward.private_seg_size, 0
	.set _kldiv_kernel_forward.uses_vcc, 1
	.set _kldiv_kernel_forward.uses_flat_scratch, 0
	.set _kldiv_kernel_forward.has_dyn_sized_stack, 0
	.set _kldiv_kernel_forward.has_recursion, 0
	.set _kldiv_kernel_forward.has_indirect_call, 0
	.section	.AMDGPU.csdata,"",@progbits
; Kernel info:
; codeLenInByte = 3696
; TotalNumSgprs: 61
; NumVgprs: 56
; NumAgprs: 0
; TotalNumVgprs: 56
; ScratchSize: 0
; MemoryBound: 0
; FloatMode: 240
; IeeeMode: 1
; LDSByteSize: 0 bytes/workgroup (compile time only)
; SGPRBlocks: 7
; VGPRBlocks: 6
; NumSGPRsForWavesPerEU: 61
; NumVGPRsForWavesPerEU: 56
; AccumOffset: 56
; Occupancy: 8
; WaveLimiterHint : 0
; COMPUTE_PGM_RSRC2:SCRATCH_EN: 0
; COMPUTE_PGM_RSRC2:USER_SGPR: 15
; COMPUTE_PGM_RSRC2:TRAP_HANDLER: 0
; COMPUTE_PGM_RSRC2:TGID_X_EN: 1
; COMPUTE_PGM_RSRC2:TGID_Y_EN: 0
; COMPUTE_PGM_RSRC2:TGID_Z_EN: 0
; COMPUTE_PGM_RSRC2:TIDIG_COMP_CNT: 0
; COMPUTE_PGM_RSRC3_GFX90A:ACCUM_OFFSET: 13
; COMPUTE_PGM_RSRC3_GFX90A:TG_SPLIT: 0
	.text
	.p2alignl 6, 3212836864
	.fill 256, 4, 3212836864
	.section	.AMDGPU.gpr_maximums,"",@progbits
	.set amdgpu.max_num_vgpr, 0
	.set amdgpu.max_num_agpr, 0
	.set amdgpu.max_num_sgpr, 0
	.set amdgpu.max_num_named_barrier, 0
	.text
	.section	.debug_abbrev,"",@progbits
	.byte	1                               ; Abbreviation Code
	.byte	17                              ; DW_TAG_compile_unit
	.byte	1                               ; DW_CHILDREN_yes
	.byte	37                              ; DW_AT_producer
	.byte	14                              ; DW_FORM_strp
	.byte	19                              ; DW_AT_language
	.byte	5                               ; DW_FORM_data2
	.byte	3                               ; DW_AT_name
	.byte	14                              ; DW_FORM_strp
	.byte	16                              ; DW_AT_stmt_list
	.byte	23                              ; DW_FORM_sec_offset
	.byte	27                              ; DW_AT_comp_dir
	.byte	14                              ; DW_FORM_strp
	.byte	17                              ; DW_AT_low_pc
	.byte	1                               ; DW_FORM_addr
	.byte	18                              ; DW_AT_high_pc
	.byte	6                               ; DW_FORM_data4
	.byte	0                               ; EOM(1)
	.byte	0                               ; EOM(2)
	.byte	2                               ; Abbreviation Code
	.byte	46                              ; DW_TAG_subprogram
	.byte	0                               ; DW_CHILDREN_no
	.byte	3                               ; DW_AT_name
	.byte	14                              ; DW_FORM_strp
	.byte	32                              ; DW_AT_inline
	.byte	11                              ; DW_FORM_data1
	.byte	0                               ; EOM(1)
	.byte	0                               ; EOM(2)
	.byte	3                               ; Abbreviation Code
	.byte	46                              ; DW_TAG_subprogram
	.byte	1                               ; DW_CHILDREN_yes
	.byte	17                              ; DW_AT_low_pc
	.byte	1                               ; DW_FORM_addr
	.byte	18                              ; DW_AT_high_pc
	.byte	6                               ; DW_FORM_data4
	.byte	49                              ; DW_AT_abstract_origin
	.byte	19                              ; DW_FORM_ref4
	.byte	0                               ; EOM(1)
	.byte	0                               ; EOM(2)
	.byte	4                               ; Abbreviation Code
	.byte	29                              ; DW_TAG_inlined_subroutine
	.byte	1                               ; DW_CHILDREN_yes
	.byte	49                              ; DW_AT_abstract_origin
	.byte	19                              ; DW_FORM_ref4
	.byte	85                              ; DW_AT_ranges
	.byte	23                              ; DW_FORM_sec_offset
	.byte	88                              ; DW_AT_call_file
	.byte	11                              ; DW_FORM_data1
	.byte	89                              ; DW_AT_call_line
	.byte	11                              ; DW_FORM_data1
	.byte	87                              ; DW_AT_call_column
	.byte	11                              ; DW_FORM_data1
	.byte	0                               ; EOM(1)
	.byte	0                               ; EOM(2)
	.byte	5                               ; Abbreviation Code
	.byte	29                              ; DW_TAG_inlined_subroutine
	.byte	0                               ; DW_CHILDREN_no
	.byte	49                              ; DW_AT_abstract_origin
	.byte	19                              ; DW_FORM_ref4
	.byte	85                              ; DW_AT_ranges
	.byte	23                              ; DW_FORM_sec_offset
	.byte	88                              ; DW_AT_call_file
	.byte	11                              ; DW_FORM_data1
	.byte	89                              ; DW_AT_call_line
	.byte	5                               ; DW_FORM_data2
	.byte	87                              ; DW_AT_call_column
	.byte	11                              ; DW_FORM_data1
	.byte	0                               ; EOM(1)
	.byte	0                               ; EOM(2)
	;; [unrolled: 1-line block ×3, first 2 shown]
	.section	.debug_info,"",@progbits
.Lcu_begin0:
	.long	.Ldebug_info_end0-.Ldebug_info_start0 ; Length of Unit
.Ldebug_info_start0:
	.short	4                               ; DWARF version number
	.long	.debug_abbrev                   ; Offset Into Abbrev. Section
	.byte	8                               ; Address Size (in bytes)
	.byte	1                               ; Abbrev [1] 0xb:0x52 DW_TAG_compile_unit
	.long	.Linfo_string0                  ; DW_AT_producer
	.short	2                               ; DW_AT_language
	.long	.Linfo_string1                  ; DW_AT_name
	.long	.Lline_table_start0             ; DW_AT_stmt_list
	.long	.Linfo_string2                  ; DW_AT_comp_dir
	.quad	.Lfunc_begin0                   ; DW_AT_low_pc
	.long	.Lfunc_end0-.Lfunc_begin0       ; DW_AT_high_pc
	.byte	2                               ; Abbrev [2] 0x2a:0x6 DW_TAG_subprogram
	.long	.Linfo_string3                  ; DW_AT_name
	.byte	1                               ; DW_AT_inline
	.byte	3                               ; Abbrev [3] 0x30:0x2c DW_TAG_subprogram
	.quad	.Lfunc_begin0                   ; DW_AT_low_pc
	.long	.Lfunc_end0-.Lfunc_begin0       ; DW_AT_high_pc
	.long	42                              ; DW_AT_abstract_origin
	.byte	4                               ; Abbrev [4] 0x41:0x1a DW_TAG_inlined_subroutine
	.long	42                              ; DW_AT_abstract_origin
	.long	.Ldebug_ranges0                 ; DW_AT_ranges
	.byte	1                               ; DW_AT_call_file
	.byte	49                              ; DW_AT_call_line
	.byte	31                              ; DW_AT_call_column
	.byte	5                               ; Abbrev [5] 0x4d:0xd DW_TAG_inlined_subroutine
	.long	42                              ; DW_AT_abstract_origin
	.long	.Ldebug_ranges1                 ; DW_AT_ranges
	.byte	2                               ; DW_AT_call_file
	.short	293                             ; DW_AT_call_line
	.byte	36                              ; DW_AT_call_column
	.byte	0                               ; End Of Children Mark
	.byte	0                               ; End Of Children Mark
	;; [unrolled: 1-line block ×3, first 2 shown]
.Ldebug_info_end0:
	.section	.debug_ranges,"",@progbits
.Ldebug_ranges0:
	.quad	.Ltmp2-.Lfunc_begin0
	.quad	.Ltmp3-.Lfunc_begin0
	;; [unrolled: 1-line block ×34, first 2 shown]
	.quad	0
	.quad	0
.Ldebug_ranges1:
	.quad	.Ltmp6-.Lfunc_begin0
	.quad	.Ltmp7-.Lfunc_begin0
	;; [unrolled: 1-line block ×32, first 2 shown]
	.quad	0
	.quad	0
	.section	.debug_str,"MS",@progbits,1
.Linfo_string0:
	.asciz	"triton"                        ; string offset=0
.Linfo_string1:
	.asciz	"kl_div_aot.py"                 ; string offset=7
.Linfo_string2:
	.asciz	"/root/src/amdgpu-assembly/repos/linkedin__Liger-Kernel/triton_aot_kernels" ; string offset=21
.Linfo_string3:
	.asciz	"_kldiv_kernel_forward"         ; string offset=95
	.section	".note.GNU-stack","",@progbits
	.amdgpu_metadata
---
amdhsa.kernels:
  - .agpr_count:     0
    .args:
      - .address_space:  global
        .offset:         0
        .size:           8
        .value_kind:     global_buffer
      - .offset:         8
        .size:           4
        .value_kind:     by_value
      - .address_space:  global
        .offset:         16
        .size:           8
        .value_kind:     global_buffer
      - .offset:         24
        .size:           4
        .value_kind:     by_value
      - .address_space:  global
        .offset:         32
        .size:           8
        .value_kind:     global_buffer
      - .offset:         40
        .size:           4
        .value_kind:     by_value
      - .offset:         44
        .size:           4
        .value_kind:     by_value
      - .offset:         48
        .size:           4
        .value_kind:     by_value
      - .address_space:  global
        .offset:         56
        .size:           8
        .value_kind:     global_buffer
      - .address_space:  global
        .offset:         64
        .size:           8
        .value_kind:     global_buffer
    .group_segment_fixed_size: 0
    .kernarg_segment_align: 8
    .kernarg_segment_size: 72
    .max_flat_workgroup_size: 256
    .name:           _kldiv_kernel_forward
    .private_segment_fixed_size: 0
    .sgpr_count:     61
    .sgpr_spill_count: 0
    .symbol:         _kldiv_kernel_forward.kd
    .uniform_work_group_size: 1
    .uses_dynamic_stack: false
    .vgpr_count:     56
    .vgpr_spill_count: 0
    .wavefront_size: 64
amdhsa.target:   amdgcn-amd-amdhsa--gfx950
amdhsa.version:
  - 1
  - 2
...

	.end_amdgpu_metadata
	.section	.debug_line,"",@progbits
.Lline_table_start0:
